;; amdgpu-corpus repo=ROCm/rocFFT kind=compiled arch=gfx1030 opt=O3
	.text
	.amdgcn_target "amdgcn-amd-amdhsa--gfx1030"
	.amdhsa_code_object_version 6
	.protected	fft_rtc_back_len250_factors_10_5_5_wgs_125_tpt_25_halfLds_dp_op_CI_CI_unitstride_sbrr_C2R_dirReg ; -- Begin function fft_rtc_back_len250_factors_10_5_5_wgs_125_tpt_25_halfLds_dp_op_CI_CI_unitstride_sbrr_C2R_dirReg
	.globl	fft_rtc_back_len250_factors_10_5_5_wgs_125_tpt_25_halfLds_dp_op_CI_CI_unitstride_sbrr_C2R_dirReg
	.p2align	8
	.type	fft_rtc_back_len250_factors_10_5_5_wgs_125_tpt_25_halfLds_dp_op_CI_CI_unitstride_sbrr_C2R_dirReg,@function
fft_rtc_back_len250_factors_10_5_5_wgs_125_tpt_25_halfLds_dp_op_CI_CI_unitstride_sbrr_C2R_dirReg: ; @fft_rtc_back_len250_factors_10_5_5_wgs_125_tpt_25_halfLds_dp_op_CI_CI_unitstride_sbrr_C2R_dirReg
; %bb.0:
	s_load_dwordx4 s[12:15], s[4:5], 0x0
	v_mul_u32_u24_e32 v1, 0xa3e, v0
	s_clause 0x1
	s_load_dwordx4 s[8:11], s[4:5], 0x58
	s_load_dwordx4 s[16:19], s[4:5], 0x18
	v_mov_b32_e32 v5, 0
	v_lshrrev_b32_e32 v3, 16, v1
	v_mov_b32_e32 v1, 0
	v_mov_b32_e32 v2, 0
	v_mad_u64_u32 v[3:4], null, s6, 5, v[3:4]
	v_mov_b32_e32 v4, v5
	v_mov_b32_e32 v17, v2
	;; [unrolled: 1-line block ×5, first 2 shown]
	s_waitcnt lgkmcnt(0)
	v_cmp_lt_u64_e64 s0, s[14:15], 2
	s_and_b32 vcc_lo, exec_lo, s0
	s_cbranch_vccnz .LBB0_8
; %bb.1:
	s_load_dwordx2 s[0:1], s[4:5], 0x10
	v_mov_b32_e32 v1, 0
	v_mov_b32_e32 v2, 0
	s_add_u32 s2, s18, 8
	v_mov_b32_e32 v8, v4
	s_addc_u32 s3, s19, 0
	v_mov_b32_e32 v7, v3
	v_mov_b32_e32 v17, v2
	s_add_u32 s6, s16, 8
	v_mov_b32_e32 v16, v1
	s_addc_u32 s7, s17, 0
	s_mov_b64 s[22:23], 1
	s_waitcnt lgkmcnt(0)
	s_add_u32 s20, s0, 8
	s_addc_u32 s21, s1, 0
.LBB0_2:                                ; =>This Inner Loop Header: Depth=1
	s_load_dwordx2 s[24:25], s[20:21], 0x0
                                        ; implicit-def: $vgpr18_vgpr19
	s_mov_b32 s0, exec_lo
	s_waitcnt lgkmcnt(0)
	v_or_b32_e32 v6, s25, v8
	v_cmpx_ne_u64_e32 0, v[5:6]
	s_xor_b32 s1, exec_lo, s0
	s_cbranch_execz .LBB0_4
; %bb.3:                                ;   in Loop: Header=BB0_2 Depth=1
	v_cvt_f32_u32_e32 v4, s24
	v_cvt_f32_u32_e32 v6, s25
	s_sub_u32 s0, 0, s24
	s_subb_u32 s26, 0, s25
	v_fmac_f32_e32 v4, 0x4f800000, v6
	v_rcp_f32_e32 v4, v4
	v_mul_f32_e32 v4, 0x5f7ffffc, v4
	v_mul_f32_e32 v6, 0x2f800000, v4
	v_trunc_f32_e32 v6, v6
	v_fmac_f32_e32 v4, 0xcf800000, v6
	v_cvt_u32_f32_e32 v6, v6
	v_cvt_u32_f32_e32 v4, v4
	v_mul_lo_u32 v9, s0, v6
	v_mul_hi_u32 v10, s0, v4
	v_mul_lo_u32 v11, s26, v4
	v_add_nc_u32_e32 v9, v10, v9
	v_mul_lo_u32 v10, s0, v4
	v_add_nc_u32_e32 v9, v9, v11
	v_mul_hi_u32 v11, v4, v10
	v_mul_lo_u32 v12, v4, v9
	v_mul_hi_u32 v13, v4, v9
	v_mul_hi_u32 v14, v6, v10
	v_mul_lo_u32 v10, v6, v10
	v_mul_hi_u32 v15, v6, v9
	v_mul_lo_u32 v9, v6, v9
	v_add_co_u32 v11, vcc_lo, v11, v12
	v_add_co_ci_u32_e32 v12, vcc_lo, 0, v13, vcc_lo
	v_add_co_u32 v10, vcc_lo, v11, v10
	v_add_co_ci_u32_e32 v10, vcc_lo, v12, v14, vcc_lo
	v_add_co_ci_u32_e32 v11, vcc_lo, 0, v15, vcc_lo
	v_add_co_u32 v9, vcc_lo, v10, v9
	v_add_co_ci_u32_e32 v10, vcc_lo, 0, v11, vcc_lo
	v_add_co_u32 v4, vcc_lo, v4, v9
	v_add_co_ci_u32_e32 v6, vcc_lo, v6, v10, vcc_lo
	v_mul_hi_u32 v9, s0, v4
	v_mul_lo_u32 v11, s26, v4
	v_mul_lo_u32 v10, s0, v6
	v_add_nc_u32_e32 v9, v9, v10
	v_mul_lo_u32 v10, s0, v4
	v_add_nc_u32_e32 v9, v9, v11
	v_mul_hi_u32 v11, v4, v10
	v_mul_lo_u32 v12, v4, v9
	v_mul_hi_u32 v13, v4, v9
	v_mul_hi_u32 v14, v6, v10
	v_mul_lo_u32 v10, v6, v10
	v_mul_hi_u32 v15, v6, v9
	v_mul_lo_u32 v9, v6, v9
	v_add_co_u32 v11, vcc_lo, v11, v12
	v_add_co_ci_u32_e32 v12, vcc_lo, 0, v13, vcc_lo
	v_add_co_u32 v10, vcc_lo, v11, v10
	v_add_co_ci_u32_e32 v10, vcc_lo, v12, v14, vcc_lo
	v_add_co_ci_u32_e32 v11, vcc_lo, 0, v15, vcc_lo
	v_add_co_u32 v9, vcc_lo, v10, v9
	v_add_co_ci_u32_e32 v10, vcc_lo, 0, v11, vcc_lo
	v_add_co_u32 v4, vcc_lo, v4, v9
	v_add_co_ci_u32_e32 v6, vcc_lo, v6, v10, vcc_lo
	v_mul_hi_u32 v15, v7, v4
	v_mad_u64_u32 v[11:12], null, v8, v4, 0
	v_mad_u64_u32 v[9:10], null, v7, v6, 0
	;; [unrolled: 1-line block ×3, first 2 shown]
	v_add_co_u32 v4, vcc_lo, v15, v9
	v_add_co_ci_u32_e32 v6, vcc_lo, 0, v10, vcc_lo
	v_add_co_u32 v4, vcc_lo, v4, v11
	v_add_co_ci_u32_e32 v4, vcc_lo, v6, v12, vcc_lo
	v_add_co_ci_u32_e32 v6, vcc_lo, 0, v14, vcc_lo
	v_add_co_u32 v4, vcc_lo, v4, v13
	v_add_co_ci_u32_e32 v6, vcc_lo, 0, v6, vcc_lo
	v_mul_lo_u32 v11, s25, v4
	v_mad_u64_u32 v[9:10], null, s24, v4, 0
	v_mul_lo_u32 v12, s24, v6
	v_sub_co_u32 v9, vcc_lo, v7, v9
	v_add3_u32 v10, v10, v12, v11
	v_sub_nc_u32_e32 v11, v8, v10
	v_subrev_co_ci_u32_e64 v11, s0, s25, v11, vcc_lo
	v_add_co_u32 v12, s0, v4, 2
	v_add_co_ci_u32_e64 v13, s0, 0, v6, s0
	v_sub_co_u32 v14, s0, v9, s24
	v_sub_co_ci_u32_e32 v10, vcc_lo, v8, v10, vcc_lo
	v_subrev_co_ci_u32_e64 v11, s0, 0, v11, s0
	v_cmp_le_u32_e32 vcc_lo, s24, v14
	v_cmp_eq_u32_e64 s0, s25, v10
	v_cndmask_b32_e64 v14, 0, -1, vcc_lo
	v_cmp_le_u32_e32 vcc_lo, s25, v11
	v_cndmask_b32_e64 v15, 0, -1, vcc_lo
	v_cmp_le_u32_e32 vcc_lo, s24, v9
	;; [unrolled: 2-line block ×3, first 2 shown]
	v_cndmask_b32_e64 v18, 0, -1, vcc_lo
	v_cmp_eq_u32_e32 vcc_lo, s25, v11
	v_cndmask_b32_e64 v9, v18, v9, s0
	v_cndmask_b32_e32 v11, v15, v14, vcc_lo
	v_add_co_u32 v14, vcc_lo, v4, 1
	v_add_co_ci_u32_e32 v15, vcc_lo, 0, v6, vcc_lo
	v_cmp_ne_u32_e32 vcc_lo, 0, v11
	v_cndmask_b32_e32 v10, v15, v13, vcc_lo
	v_cndmask_b32_e32 v11, v14, v12, vcc_lo
	v_cmp_ne_u32_e32 vcc_lo, 0, v9
	v_cndmask_b32_e32 v19, v6, v10, vcc_lo
	v_cndmask_b32_e32 v18, v4, v11, vcc_lo
.LBB0_4:                                ;   in Loop: Header=BB0_2 Depth=1
	s_andn2_saveexec_b32 s0, s1
	s_cbranch_execz .LBB0_6
; %bb.5:                                ;   in Loop: Header=BB0_2 Depth=1
	v_cvt_f32_u32_e32 v4, s24
	s_sub_i32 s1, 0, s24
	v_mov_b32_e32 v19, v5
	v_rcp_iflag_f32_e32 v4, v4
	v_mul_f32_e32 v4, 0x4f7ffffe, v4
	v_cvt_u32_f32_e32 v4, v4
	v_mul_lo_u32 v6, s1, v4
	v_mul_hi_u32 v6, v4, v6
	v_add_nc_u32_e32 v4, v4, v6
	v_mul_hi_u32 v4, v7, v4
	v_mul_lo_u32 v6, v4, s24
	v_add_nc_u32_e32 v9, 1, v4
	v_sub_nc_u32_e32 v6, v7, v6
	v_subrev_nc_u32_e32 v10, s24, v6
	v_cmp_le_u32_e32 vcc_lo, s24, v6
	v_cndmask_b32_e32 v6, v6, v10, vcc_lo
	v_cndmask_b32_e32 v4, v4, v9, vcc_lo
	v_cmp_le_u32_e32 vcc_lo, s24, v6
	v_add_nc_u32_e32 v9, 1, v4
	v_cndmask_b32_e32 v18, v4, v9, vcc_lo
.LBB0_6:                                ;   in Loop: Header=BB0_2 Depth=1
	s_or_b32 exec_lo, exec_lo, s0
	v_mul_lo_u32 v4, v19, s24
	v_mul_lo_u32 v6, v18, s25
	s_load_dwordx2 s[0:1], s[6:7], 0x0
	v_mad_u64_u32 v[9:10], null, v18, s24, 0
	s_load_dwordx2 s[24:25], s[2:3], 0x0
	s_add_u32 s22, s22, 1
	s_addc_u32 s23, s23, 0
	s_add_u32 s2, s2, 8
	s_addc_u32 s3, s3, 0
	s_add_u32 s6, s6, 8
	v_add3_u32 v4, v10, v6, v4
	v_sub_co_u32 v6, vcc_lo, v7, v9
	s_addc_u32 s7, s7, 0
	s_add_u32 s20, s20, 8
	v_sub_co_ci_u32_e32 v4, vcc_lo, v8, v4, vcc_lo
	s_addc_u32 s21, s21, 0
	s_waitcnt lgkmcnt(0)
	v_mul_lo_u32 v7, s0, v4
	v_mul_lo_u32 v8, s1, v6
	v_mad_u64_u32 v[1:2], null, s0, v6, v[1:2]
	v_mul_lo_u32 v4, s24, v4
	v_mul_lo_u32 v9, s25, v6
	v_mad_u64_u32 v[16:17], null, s24, v6, v[16:17]
	v_cmp_ge_u64_e64 s0, s[22:23], s[14:15]
	v_add3_u32 v2, v8, v2, v7
	v_add3_u32 v17, v9, v17, v4
	s_and_b32 vcc_lo, exec_lo, s0
	s_cbranch_vccnz .LBB0_8
; %bb.7:                                ;   in Loop: Header=BB0_2 Depth=1
	v_mov_b32_e32 v7, v18
	v_mov_b32_e32 v8, v19
	s_branch .LBB0_2
.LBB0_8:
	s_load_dwordx2 s[0:1], s[4:5], 0x28
	v_mul_hi_u32 v4, 0xcccccccd, v3
	s_lshl_b64 s[4:5], s[14:15], 3
                                        ; implicit-def: $vgpr20
	s_add_u32 s2, s18, s4
	s_addc_u32 s3, s19, s5
	v_lshrrev_b32_e32 v4, 2, v4
	v_lshl_add_u32 v5, v4, 2, v4
	v_mul_hi_u32 v4, 0xa3d70a4, v0
	v_sub_nc_u32_e32 v3, v3, v5
	s_waitcnt lgkmcnt(0)
	v_cmp_gt_u64_e32 vcc_lo, s[0:1], v[18:19]
	v_cmp_le_u64_e64 s0, s[0:1], v[18:19]
	s_and_saveexec_b32 s1, s0
	s_xor_b32 s0, exec_lo, s1
; %bb.9:
	v_mul_u32_u24_e32 v1, 25, v4
                                        ; implicit-def: $vgpr4
	v_sub_nc_u32_e32 v20, v0, v1
                                        ; implicit-def: $vgpr0
                                        ; implicit-def: $vgpr1_vgpr2
; %bb.10:
	s_or_saveexec_b32 s1, s0
	s_load_dwordx2 s[2:3], s[2:3], 0x0
	v_mul_u32_u24_e32 v3, 0xfb, v3
	v_lshlrev_b32_e32 v24, 4, v3
	s_xor_b32 exec_lo, exec_lo, s1
	s_cbranch_execz .LBB0_14
; %bb.11:
	s_add_u32 s4, s16, s4
	s_addc_u32 s5, s17, s5
	v_lshlrev_b64 v[1:2], 4, v[1:2]
	s_load_dwordx2 s[4:5], s[4:5], 0x0
	s_waitcnt lgkmcnt(0)
	v_mul_lo_u32 v7, s5, v18
	v_mul_lo_u32 v8, s4, v19
	v_mad_u64_u32 v[5:6], null, s4, v18, 0
	s_mov_b32 s4, exec_lo
	v_add3_u32 v6, v6, v8, v7
	v_mul_u32_u24_e32 v7, 25, v4
	v_lshlrev_b64 v[4:5], 4, v[5:6]
	v_sub_nc_u32_e32 v20, v0, v7
	v_lshlrev_b32_e32 v23, 4, v20
	v_add_co_u32 v0, s0, s8, v4
	v_add_co_ci_u32_e64 v4, s0, s9, v5, s0
	v_add_co_u32 v0, s0, v0, v1
	v_add_co_ci_u32_e64 v1, s0, v4, v2, s0
	v_add3_u32 v2, 0, v24, v23
	v_add_co_u32 v21, s0, v0, v23
	v_add_co_ci_u32_e64 v22, s0, 0, v1, s0
	s_clause 0x1
	global_load_dwordx4 v[4:7], v[21:22], off
	global_load_dwordx4 v[8:11], v[21:22], off offset:400
	v_add_co_u32 v49, s0, 0x800, v21
	v_add_co_ci_u32_e64 v50, s0, 0, v22, s0
	s_clause 0x7
	global_load_dwordx4 v[12:15], v[21:22], off offset:800
	global_load_dwordx4 v[25:28], v[21:22], off offset:1200
	;; [unrolled: 1-line block ×8, first 2 shown]
	s_waitcnt vmcnt(9)
	ds_write_b128 v2, v[4:7]
	s_waitcnt vmcnt(8)
	ds_write_b128 v2, v[8:11] offset:400
	s_waitcnt vmcnt(7)
	ds_write_b128 v2, v[12:15] offset:800
	;; [unrolled: 2-line block ×9, first 2 shown]
	v_cmpx_eq_u32_e32 24, v20
	s_cbranch_execz .LBB0_13
; %bb.12:
	v_add_co_u32 v0, s0, 0x800, v0
	v_add_co_ci_u32_e64 v1, s0, 0, v1, s0
	v_mov_b32_e32 v20, 24
	global_load_dwordx4 v[4:7], v[0:1], off offset:1952
	s_waitcnt vmcnt(0)
	ds_write_b128 v2, v[4:7] offset:3616
.LBB0_13:
	s_or_b32 exec_lo, exec_lo, s4
.LBB0_14:
	s_or_b32 exec_lo, exec_lo, s1
	v_lshl_add_u32 v22, v3, 4, 0
	v_lshlrev_b32_e32 v10, 4, v20
	s_waitcnt lgkmcnt(0)
	s_barrier
	buffer_gl0_inv
	s_add_u32 s1, s12, 0xf00
	v_add_nc_u32_e32 v23, v22, v10
	v_sub_nc_u32_e32 v11, v22, v10
	s_addc_u32 s4, s13, 0
	s_mov_b32 s5, exec_lo
	ds_read_b64 v[6:7], v23
	ds_read_b64 v[8:9], v11 offset:4000
                                        ; implicit-def: $vgpr4_vgpr5
	s_waitcnt lgkmcnt(0)
	v_add_f64 v[0:1], v[6:7], v[8:9]
	v_add_f64 v[2:3], v[6:7], -v[8:9]
	v_cmpx_ne_u32_e32 0, v20
	s_xor_b32 s5, exec_lo, s5
	s_cbranch_execz .LBB0_16
; %bb.15:
	v_mov_b32_e32 v21, 0
	v_add_f64 v[14:15], v[6:7], v[8:9]
	v_add_f64 v[25:26], v[6:7], -v[8:9]
	v_lshlrev_b64 v[0:1], 4, v[20:21]
	v_add_co_u32 v0, s0, s1, v0
	v_add_co_ci_u32_e64 v1, s0, s4, v1, s0
	global_load_dwordx4 v[2:5], v[0:1], off
	ds_read_b64 v[0:1], v11 offset:4008
	ds_read_b64 v[12:13], v23 offset:8
	s_waitcnt lgkmcnt(0)
	v_add_f64 v[6:7], v[0:1], v[12:13]
	v_add_f64 v[0:1], v[12:13], -v[0:1]
	s_waitcnt vmcnt(0)
	v_fma_f64 v[8:9], v[25:26], v[4:5], v[14:15]
	v_fma_f64 v[12:13], -v[25:26], v[4:5], v[14:15]
	v_fma_f64 v[14:15], v[6:7], v[4:5], -v[0:1]
	v_fma_f64 v[4:5], v[6:7], v[4:5], v[0:1]
	v_fma_f64 v[0:1], -v[6:7], v[2:3], v[8:9]
	v_fma_f64 v[6:7], v[6:7], v[2:3], v[12:13]
	v_fma_f64 v[8:9], v[25:26], v[2:3], v[14:15]
	;; [unrolled: 1-line block ×3, first 2 shown]
	v_mov_b32_e32 v4, v20
	v_mov_b32_e32 v5, v21
	ds_write_b128 v11, v[6:9] offset:4000
.LBB0_16:
	s_andn2_saveexec_b32 s0, s5
	s_cbranch_execz .LBB0_18
; %bb.17:
	ds_read_b128 v[4:7], v22 offset:2000
	s_waitcnt lgkmcnt(0)
	v_add_f64 v[12:13], v[4:5], v[4:5]
	v_mul_f64 v[14:15], v[6:7], -2.0
	v_mov_b32_e32 v4, 0
	v_mov_b32_e32 v5, 0
	ds_write_b128 v22, v[12:15] offset:2000
.LBB0_18:
	s_or_b32 exec_lo, exec_lo, s0
	v_lshlrev_b64 v[4:5], 4, v[4:5]
	v_add3_u32 v21, 0, v10, v24
	s_mov_b32 s7, 0x3fee6f0e
	s_mov_b32 s8, 0x4755a5e
	;; [unrolled: 1-line block ×4, first 2 shown]
	v_add_co_u32 v8, s0, s1, v4
	v_add_co_ci_u32_e64 v9, s0, s4, v5, s0
	s_mov_b32 s4, 0x134454ff
	s_mov_b32 s5, 0xbfee6f0e
	s_mov_b32 s6, s4
	s_clause 0x2
	global_load_dwordx4 v[4:7], v[8:9], off offset:400
	global_load_dwordx4 v[12:15], v[8:9], off offset:800
	;; [unrolled: 1-line block ×3, first 2 shown]
	ds_write_b128 v23, v[0:3]
	ds_read_b128 v[0:3], v23 offset:400
	ds_read_b128 v[29:32], v11 offset:3600
	global_load_dwordx4 v[33:36], v[8:9], off offset:1600
	s_mov_b32 s14, s8
	s_mov_b32 s16, 0x372fe950
	;; [unrolled: 1-line block ×9, first 2 shown]
	v_and_b32_e32 v95, 0xff, v20
	v_mov_b32_e32 v99, 4
	s_waitcnt lgkmcnt(0)
	v_add_f64 v[8:9], v[0:1], v[29:30]
	v_add_f64 v[37:38], v[31:32], v[2:3]
	v_add_f64 v[29:30], v[0:1], -v[29:30]
	v_add_f64 v[0:1], v[2:3], -v[31:32]
	s_waitcnt vmcnt(3)
	v_fma_f64 v[2:3], v[29:30], v[6:7], v[8:9]
	v_fma_f64 v[31:32], v[37:38], v[6:7], v[0:1]
	v_fma_f64 v[8:9], -v[29:30], v[6:7], v[8:9]
	v_fma_f64 v[39:40], v[37:38], v[6:7], -v[0:1]
	v_fma_f64 v[0:1], -v[37:38], v[4:5], v[2:3]
	v_fma_f64 v[2:3], v[29:30], v[4:5], v[31:32]
	v_fma_f64 v[6:7], v[37:38], v[4:5], v[8:9]
	v_fma_f64 v[8:9], v[29:30], v[4:5], v[39:40]
	ds_write_b128 v23, v[0:3] offset:400
	ds_write_b128 v11, v[6:9] offset:3600
	ds_read_b128 v[0:3], v23 offset:800
	ds_read_b128 v[4:7], v11 offset:3200
	s_waitcnt lgkmcnt(0)
	v_add_f64 v[8:9], v[0:1], v[4:5]
	v_add_f64 v[29:30], v[6:7], v[2:3]
	v_add_f64 v[31:32], v[0:1], -v[4:5]
	v_add_f64 v[0:1], v[2:3], -v[6:7]
	s_waitcnt vmcnt(2)
	v_fma_f64 v[2:3], v[31:32], v[14:15], v[8:9]
	v_fma_f64 v[4:5], v[29:30], v[14:15], v[0:1]
	v_fma_f64 v[6:7], -v[31:32], v[14:15], v[8:9]
	v_fma_f64 v[8:9], v[29:30], v[14:15], -v[0:1]
	v_fma_f64 v[0:1], -v[29:30], v[12:13], v[2:3]
	v_fma_f64 v[2:3], v[31:32], v[12:13], v[4:5]
	v_fma_f64 v[4:5], v[29:30], v[12:13], v[6:7]
	v_fma_f64 v[6:7], v[31:32], v[12:13], v[8:9]
	ds_write_b128 v23, v[0:3] offset:800
	ds_write_b128 v11, v[4:7] offset:3200
	ds_read_b128 v[0:3], v23 offset:1200
	ds_read_b128 v[4:7], v11 offset:2800
	;; [unrolled: 18-line block ×3, first 2 shown]
	s_waitcnt lgkmcnt(0)
	v_add_f64 v[8:9], v[0:1], v[4:5]
	v_add_f64 v[12:13], v[6:7], v[2:3]
	v_add_f64 v[14:15], v[0:1], -v[4:5]
	v_add_f64 v[0:1], v[2:3], -v[6:7]
	s_waitcnt vmcnt(0)
	v_fma_f64 v[2:3], v[14:15], v[35:36], v[8:9]
	v_fma_f64 v[4:5], v[12:13], v[35:36], v[0:1]
	v_fma_f64 v[6:7], -v[14:15], v[35:36], v[8:9]
	v_fma_f64 v[8:9], v[12:13], v[35:36], -v[0:1]
	v_fma_f64 v[0:1], -v[12:13], v[33:34], v[2:3]
	v_fma_f64 v[2:3], v[14:15], v[33:34], v[4:5]
	v_fma_f64 v[4:5], v[12:13], v[33:34], v[6:7]
	;; [unrolled: 1-line block ×3, first 2 shown]
	ds_write_b128 v23, v[0:3] offset:1600
	ds_write_b128 v11, v[4:7] offset:2400
	s_waitcnt lgkmcnt(0)
	s_barrier
	buffer_gl0_inv
	s_barrier
	buffer_gl0_inv
	ds_read_b128 v[25:28], v21 offset:1200
	ds_read_b128 v[29:32], v21 offset:2000
	;; [unrolled: 1-line block ×5, first 2 shown]
	ds_read_b128 v[37:40], v23
	ds_read_b128 v[41:44], v21 offset:1600
	ds_read_b128 v[12:15], v21 offset:2400
	;; [unrolled: 1-line block ×4, first 2 shown]
	s_waitcnt lgkmcnt(0)
	s_barrier
	buffer_gl0_inv
	v_add_f64 v[85:86], v[25:26], -v[29:30]
	v_add_f64 v[49:50], v[31:32], v[10:11]
	v_add_f64 v[51:52], v[27:28], v[2:3]
	;; [unrolled: 1-line block ×11, first 2 shown]
	v_add_f64 v[81:82], v[29:30], -v[8:9]
	v_add_f64 v[83:84], v[25:26], -v[0:1]
	v_add_f64 v[55:56], v[37:38], v[33:34]
	v_add_f64 v[67:68], v[35:36], -v[6:7]
	v_add_f64 v[75:76], v[35:36], -v[43:44]
	;; [unrolled: 1-line block ×8, first 2 shown]
	v_fma_f64 v[49:50], v[49:50], -0.5, v[47:48]
	v_fma_f64 v[47:48], v[51:52], -0.5, v[47:48]
	v_add_f64 v[51:52], v[27:28], -v[2:3]
	v_fma_f64 v[53:54], v[53:54], -0.5, v[45:46]
	v_fma_f64 v[45:46], v[73:74], -0.5, v[45:46]
	;; [unrolled: 1-line block ×6, first 2 shown]
	v_add_f64 v[63:64], v[43:44], -v[14:15]
	v_add_f64 v[65:66], v[31:32], -v[10:11]
	;; [unrolled: 1-line block ×4, first 2 shown]
	v_add_f64 v[43:44], v[57:58], v[43:44]
	v_add_f64 v[29:30], v[77:78], v[29:30]
	;; [unrolled: 1-line block ×3, first 2 shown]
	v_add_f64 v[71:72], v[41:42], -v[33:34]
	v_add_f64 v[33:34], v[33:34], -v[4:5]
	;; [unrolled: 1-line block ×3, first 2 shown]
	v_add_f64 v[85:86], v[85:86], v[89:90]
	v_add_f64 v[89:90], v[12:13], -v[4:5]
	v_add_f64 v[87:88], v[87:88], v[91:92]
	v_fma_f64 v[57:58], v[83:84], s[6:7], v[49:50]
	v_fma_f64 v[77:78], v[81:82], s[4:5], v[47:48]
	;; [unrolled: 1-line block ×5, first 2 shown]
	v_add_f64 v[91:92], v[8:9], -v[0:1]
	v_add_f64 v[55:56], v[55:56], v[41:42]
	v_add_f64 v[41:42], v[41:42], -v[12:13]
	v_fma_f64 v[53:54], v[51:52], s[6:7], v[53:54]
	v_add_f64 v[27:28], v[27:28], v[73:74]
	v_fma_f64 v[73:74], v[65:66], s[6:7], v[45:46]
	v_fma_f64 v[45:46], v[65:66], s[4:5], v[45:46]
	v_add_f64 v[8:9], v[29:30], v[8:9]
	v_add_f64 v[10:11], v[31:32], v[10:11]
	;; [unrolled: 1-line block ×3, first 2 shown]
	v_fma_f64 v[93:94], v[33:34], s[6:7], v[61:62]
	v_add_f64 v[71:72], v[71:72], v[89:90]
	v_fma_f64 v[89:90], v[67:68], s[4:5], v[59:60]
	v_fma_f64 v[57:58], v[81:82], s[14:15], v[57:58]
	;; [unrolled: 1-line block ×6, first 2 shown]
	v_add_f64 v[83:84], v[6:7], -v[14:15]
	v_add_f64 v[25:26], v[25:26], v[91:92]
	v_fma_f64 v[59:60], v[67:68], s[6:7], v[59:60]
	v_fma_f64 v[91:92], v[63:64], s[6:7], v[37:38]
	;; [unrolled: 1-line block ×4, first 2 shown]
	v_add_f64 v[81:82], v[14:15], -v[6:7]
	v_fma_f64 v[53:54], v[65:66], s[14:15], v[53:54]
	v_fma_f64 v[73:74], v[51:52], s[8:9], v[73:74]
	;; [unrolled: 1-line block ×5, first 2 shown]
	v_add_f64 v[12:13], v[55:56], v[12:13]
	v_add_f64 v[14:15], v[43:44], v[14:15]
	v_fma_f64 v[55:56], v[41:42], s[14:15], v[93:94]
	v_add_f64 v[0:1], v[8:9], v[0:1]
	v_fma_f64 v[29:30], v[63:64], s[8:9], v[89:90]
	v_fma_f64 v[57:58], v[87:88], s[16:17], v[57:58]
	;; [unrolled: 1-line block ×6, first 2 shown]
	v_add_f64 v[65:66], v[75:76], v[83:84]
	v_add_f64 v[2:3], v[10:11], v[2:3]
	v_fma_f64 v[31:32], v[63:64], s[14:15], v[59:60]
	v_fma_f64 v[43:44], v[67:68], s[8:9], v[91:92]
	;; [unrolled: 1-line block ×4, first 2 shown]
	v_add_f64 v[35:36], v[35:36], v[81:82]
	v_mul_lo_u16 v79, 0xcd, v95
	v_fma_f64 v[59:60], v[25:26], s[16:17], v[73:74]
	v_fma_f64 v[25:26], v[25:26], s[16:17], v[45:46]
	;; [unrolled: 1-line block ×5, first 2 shown]
	v_add_f64 v[12:13], v[12:13], v[4:5]
	v_add_f64 v[14:15], v[14:15], v[6:7]
	v_lshrrev_b16 v4, 11, v79
	v_fma_f64 v[75:76], v[69:70], s[16:17], v[29:30]
	v_mul_f64 v[45:46], v[57:58], s[8:9]
	v_mul_f64 v[61:62], v[77:78], s[4:5]
	;; [unrolled: 1-line block ×8, first 2 shown]
	v_fma_f64 v[69:70], v[69:70], s[16:17], v[31:32]
	v_fma_f64 v[77:78], v[71:72], s[16:17], v[43:44]
	;; [unrolled: 1-line block ×5, first 2 shown]
	v_mul_lo_u16 v5, v4, 10
	v_fma_f64 v[51:52], v[35:36], s[16:17], v[51:52]
	v_add_f64 v[6:7], v[12:13], v[0:1]
	v_add_f64 v[8:9], v[14:15], v[2:3]
	v_add_f64 v[10:11], v[12:13], -v[0:1]
	v_add_f64 v[12:13], v[14:15], -v[2:3]
	v_fma_f64 v[37:38], v[47:48], s[0:1], v[45:46]
	v_fma_f64 v[45:46], v[59:60], s[16:17], v[61:62]
	;; [unrolled: 1-line block ×9, first 2 shown]
	v_add_nc_u32_e32 v3, 25, v20
	v_mov_b32_e32 v0, 6
	v_sub_nc_u16 v5, v20, v5
	v_mad_u32_u24 v2, 0x90, v20, v21
	v_and_b32_e32 v1, 0xff, v3
	v_mul_lo_u16 v1, 0xcd, v1
	v_add_f64 v[25:26], v[75:76], v[37:38]
	v_add_f64 v[29:30], v[77:78], v[45:46]
	v_add_f64 v[37:38], v[75:76], -v[37:38]
	v_add_f64 v[27:28], v[31:32], v[41:42]
	v_add_f64 v[39:40], v[31:32], -v[41:42]
	v_add_f64 v[31:32], v[51:52], v[59:60]
	v_add_f64 v[33:34], v[71:72], v[47:48]
	v_add_f64 v[35:36], v[57:58], v[61:62]
	v_add_f64 v[41:42], v[69:70], v[53:54]
	v_add_f64 v[43:44], v[55:56], v[63:64]
	v_add_f64 v[45:46], v[77:78], -v[45:46]
	v_add_f64 v[49:50], v[71:72], -v[47:48]
	;; [unrolled: 1-line block ×6, first 2 shown]
	v_lshlrev_b32_sdwa v57, v0, v5 dst_sel:DWORD dst_unused:UNUSED_PAD src0_sel:DWORD src1_sel:BYTE_0
	ds_write_b128 v2, v[6:9]
	ds_write_b128 v2, v[10:13] offset:80
	ds_write_b128 v2, v[25:28] offset:16
	;; [unrolled: 1-line block ×9, first 2 shown]
	s_waitcnt lgkmcnt(0)
	s_barrier
	buffer_gl0_inv
	s_clause 0x2
	global_load_dwordx4 v[8:11], v57, s[12:13]
	global_load_dwordx4 v[12:15], v57, s[12:13] offset:16
	global_load_dwordx4 v[25:28], v57, s[12:13] offset:32
	v_lshrrev_b16 v7, 11, v1
	v_mad_i32_i24 v2, 0xffffff70, v20, v2
	v_lshlrev_b32_sdwa v5, v99, v5 dst_sel:DWORD dst_unused:UNUSED_PAD src0_sel:DWORD src1_sel:BYTE_0
	v_mul_lo_u16 v1, v7, 10
	v_sub_nc_u16 v6, v3, v1
	v_lshlrev_b32_sdwa v0, v0, v6 dst_sel:DWORD dst_unused:UNUSED_PAD src0_sel:DWORD src1_sel:BYTE_0
	s_clause 0x4
	global_load_dwordx4 v[29:32], v57, s[12:13] offset:48
	global_load_dwordx4 v[33:36], v0, s[12:13]
	global_load_dwordx4 v[37:40], v0, s[12:13] offset:16
	global_load_dwordx4 v[41:44], v0, s[12:13] offset:32
	;; [unrolled: 1-line block ×3, first 2 shown]
	ds_read_b128 v[49:52], v21 offset:800
	ds_read_b128 v[53:56], v21 offset:1600
	;; [unrolled: 1-line block ×3, first 2 shown]
	ds_read_b128 v[61:64], v23
	ds_read_b128 v[65:68], v21 offset:3200
	ds_read_b128 v[69:72], v21 offset:1200
	;; [unrolled: 1-line block ×5, first 2 shown]
	v_lshlrev_b32_sdwa v6, v99, v6 dst_sel:DWORD dst_unused:UNUSED_PAD src0_sel:DWORD src1_sel:BYTE_0
	s_waitcnt vmcnt(7) lgkmcnt(8)
	v_mul_f64 v[0:1], v[51:52], v[10:11]
	v_mul_f64 v[10:11], v[49:50], v[10:11]
	s_waitcnt vmcnt(6) lgkmcnt(7)
	v_mul_f64 v[85:86], v[55:56], v[14:15]
	v_mul_f64 v[14:15], v[53:54], v[14:15]
	;; [unrolled: 3-line block ×3, first 2 shown]
	v_fma_f64 v[0:1], v[49:50], v[8:9], v[0:1]
	v_fma_f64 v[49:50], v[51:52], v[8:9], -v[10:11]
	s_waitcnt vmcnt(4) lgkmcnt(4)
	v_mul_f64 v[51:52], v[67:68], v[31:32]
	v_mul_f64 v[31:32], v[65:66], v[31:32]
	v_fma_f64 v[53:54], v[53:54], v[12:13], v[85:86]
	v_fma_f64 v[12:13], v[55:56], v[12:13], -v[14:15]
	s_waitcnt vmcnt(3) lgkmcnt(3)
	v_mul_f64 v[14:15], v[71:72], v[35:36]
	v_mul_f64 v[35:36], v[69:70], v[35:36]
	s_waitcnt vmcnt(2) lgkmcnt(2)
	v_mul_f64 v[55:56], v[75:76], v[39:40]
	v_mul_f64 v[39:40], v[73:74], v[39:40]
	v_fma_f64 v[57:58], v[57:58], v[25:26], v[87:88]
	v_fma_f64 v[25:26], v[59:60], v[25:26], -v[27:28]
	s_waitcnt vmcnt(1) lgkmcnt(1)
	v_mul_f64 v[27:28], v[79:80], v[43:44]
	s_waitcnt vmcnt(0) lgkmcnt(0)
	v_mul_f64 v[59:60], v[83:84], v[47:48]
	v_mul_f64 v[43:44], v[77:78], v[43:44]
	;; [unrolled: 1-line block ×3, first 2 shown]
	ds_read_b128 v[8:11], v2 offset:400
	s_waitcnt lgkmcnt(0)
	s_barrier
	buffer_gl0_inv
	v_fma_f64 v[51:52], v[65:66], v[29:30], v[51:52]
	v_fma_f64 v[29:30], v[67:68], v[29:30], -v[31:32]
	v_add_f64 v[87:88], v[12:13], -v[49:50]
	v_fma_f64 v[14:15], v[69:70], v[33:34], v[14:15]
	v_fma_f64 v[31:32], v[71:72], v[33:34], -v[35:36]
	v_fma_f64 v[33:34], v[73:74], v[37:38], v[55:56]
	v_fma_f64 v[35:36], v[75:76], v[37:38], -v[39:40]
	v_add_f64 v[75:76], v[0:1], -v[53:54]
	v_add_f64 v[73:74], v[61:62], v[0:1]
	v_fma_f64 v[27:28], v[77:78], v[41:42], v[27:28]
	v_fma_f64 v[37:38], v[81:82], v[45:46], v[59:60]
	v_fma_f64 v[39:40], v[79:80], v[41:42], -v[43:44]
	v_fma_f64 v[41:42], v[83:84], v[45:46], -v[47:48]
	v_add_f64 v[43:44], v[53:54], v[57:58]
	v_add_f64 v[47:48], v[12:13], v[25:26]
	v_add_f64 v[59:60], v[63:64], v[49:50]
	v_add_f64 v[79:80], v[53:54], -v[0:1]
	v_add_f64 v[83:84], v[49:50], -v[12:13]
	;; [unrolled: 1-line block ×3, first 2 shown]
	v_add_f64 v[55:56], v[49:50], v[29:30]
	v_add_f64 v[81:82], v[57:58], -v[51:52]
	v_add_f64 v[45:46], v[0:1], v[51:52]
	v_add_f64 v[85:86], v[29:30], -v[25:26]
	v_add_f64 v[89:90], v[25:26], -v[29:30]
	v_add_f64 v[91:92], v[8:9], v[14:15]
	v_add_f64 v[93:94], v[10:11], v[31:32]
	v_add_f64 v[49:50], v[49:50], -v[29:30]
	v_add_f64 v[95:96], v[0:1], -v[51:52]
	v_add_f64 v[65:66], v[33:34], v[27:28]
	v_add_f64 v[67:68], v[14:15], v[37:38]
	;; [unrolled: 1-line block ×4, first 2 shown]
	v_fma_f64 v[43:44], v[43:44], -0.5, v[61:62]
	v_fma_f64 v[47:48], v[47:48], -0.5, v[63:64]
	v_add_f64 v[59:60], v[59:60], v[12:13]
	v_add_f64 v[73:74], v[73:74], v[53:54]
	v_add_f64 v[12:13], v[12:13], -v[25:26]
	v_add_f64 v[53:54], v[53:54], -v[57:58]
	v_add_f64 v[75:76], v[75:76], v[77:78]
	v_fma_f64 v[55:56], v[55:56], -0.5, v[63:64]
	v_add_f64 v[63:64], v[33:34], -v[14:15]
	v_add_f64 v[77:78], v[35:36], -v[31:32]
	v_add_f64 v[79:80], v[79:80], v[81:82]
	v_add_f64 v[81:82], v[39:40], -v[41:42]
	v_fma_f64 v[45:46], v[45:46], -0.5, v[61:62]
	v_add_f64 v[61:62], v[14:15], -v[33:34]
	v_add_f64 v[83:84], v[83:84], v[85:86]
	v_add_f64 v[85:86], v[31:32], -v[35:36]
	v_fma_f64 v[65:66], v[65:66], -0.5, v[8:9]
	v_fma_f64 v[8:9], v[67:68], -0.5, v[8:9]
	;; [unrolled: 1-line block ×4, first 2 shown]
	v_add_f64 v[71:72], v[27:28], -v[37:38]
	v_add_f64 v[69:70], v[37:38], -v[27:28]
	v_add_f64 v[87:88], v[87:88], v[89:90]
	v_add_f64 v[89:90], v[41:42], -v[39:40]
	v_add_f64 v[0:1], v[91:92], v[33:34]
	v_add_f64 v[91:92], v[93:94], v[35:36]
	v_add_f64 v[33:34], v[33:34], -v[27:28]
	v_add_f64 v[31:32], v[31:32], -v[41:42]
	;; [unrolled: 1-line block ×4, first 2 shown]
	v_add_f64 v[25:26], v[59:60], v[25:26]
	v_fma_f64 v[59:60], v[95:96], s[6:7], v[47:48]
	v_add_f64 v[57:58], v[73:74], v[57:58]
	v_fma_f64 v[47:48], v[95:96], s[4:5], v[47:48]
	v_fma_f64 v[73:74], v[12:13], s[6:7], v[45:46]
	;; [unrolled: 1-line block ×3, first 2 shown]
	v_add_f64 v[63:64], v[63:64], v[71:72]
	v_add_f64 v[71:72], v[77:78], v[81:82]
	v_fma_f64 v[77:78], v[49:50], s[4:5], v[43:44]
	v_fma_f64 v[81:82], v[53:54], s[4:5], v[55:56]
	;; [unrolled: 1-line block ×4, first 2 shown]
	v_add_f64 v[61:62], v[61:62], v[69:70]
	v_add_f64 v[69:70], v[85:86], v[89:90]
	;; [unrolled: 1-line block ×3, first 2 shown]
	v_fma_f64 v[89:90], v[33:34], s[4:5], v[10:11]
	v_fma_f64 v[91:92], v[31:32], s[4:5], v[65:66]
	;; [unrolled: 1-line block ×8, first 2 shown]
	v_add_f64 v[27:28], v[0:1], v[27:28]
	v_fma_f64 v[59:60], v[53:54], s[14:15], v[59:60]
	v_fma_f64 v[47:48], v[53:54], s[8:9], v[47:48]
	;; [unrolled: 1-line block ×4, first 2 shown]
	v_lshlrev_b32_e32 v0, 2, v20
	v_mov_b32_e32 v1, 0
	v_fma_f64 v[77:78], v[12:13], s[8:9], v[77:78]
	v_fma_f64 v[73:74], v[95:96], s[14:15], v[81:82]
	;; [unrolled: 1-line block ×4, first 2 shown]
	v_lshlrev_b64 v[97:98], 4, v[0:1]
	v_and_b32_e32 v0, 0xffff, v4
	v_and_b32_e32 v4, 0xffff, v7
	v_fma_f64 v[81:82], v[14:15], s[14:15], v[89:90]
	v_fma_f64 v[89:90], v[35:36], s[8:9], v[91:92]
	;; [unrolled: 1-line block ×8, first 2 shown]
	v_add_f64 v[9:10], v[25:26], v[29:30]
	v_add_f64 v[7:8], v[57:58], v[51:52]
	;; [unrolled: 1-line block ×3, first 2 shown]
	v_fma_f64 v[27:28], v[83:84], s[16:17], v[59:60]
	v_fma_f64 v[33:34], v[79:80], s[16:17], v[53:54]
	v_add_f64 v[13:14], v[39:40], v[41:42]
	v_fma_f64 v[37:38], v[79:80], s[16:17], v[45:46]
	v_fma_f64 v[25:26], v[75:76], s[16:17], v[77:78]
	v_fma_f64 v[35:36], v[87:88], s[16:17], v[73:74]
	v_fma_f64 v[39:40], v[87:88], s[16:17], v[49:50]
	v_fma_f64 v[29:30], v[75:76], s[16:17], v[43:44]
	v_fma_f64 v[31:32], v[83:84], s[16:17], v[47:48]
	v_mad_u32_u24 v0, 0x320, v0, 0
	v_add_co_u32 v57, s0, s12, v97
	v_fma_f64 v[49:50], v[61:62], s[16:17], v[89:90]
	v_fma_f64 v[51:52], v[69:70], s[16:17], v[91:92]
	;; [unrolled: 1-line block ×8, first 2 shown]
	v_mad_u32_u24 v4, 0x320, v4, 0
	v_add_co_ci_u32_e64 v58, s0, s13, v98, s0
	v_add3_u32 v0, v0, v5, v24
	v_add3_u32 v4, v4, v6, v24
	ds_write_b128 v0, v[7:10]
	ds_write_b128 v0, v[25:28] offset:160
	ds_write_b128 v0, v[33:36] offset:320
	;; [unrolled: 1-line block ×4, first 2 shown]
	ds_write_b128 v4, v[11:14]
	ds_write_b128 v4, v[49:52] offset:160
	ds_write_b128 v4, v[41:44] offset:320
	;; [unrolled: 1-line block ×4, first 2 shown]
	s_waitcnt lgkmcnt(0)
	s_barrier
	buffer_gl0_inv
	s_clause 0x2
	global_load_dwordx4 v[4:7], v[57:58], off offset:640
	global_load_dwordx4 v[8:11], v[57:58], off offset:656
	;; [unrolled: 1-line block ×3, first 2 shown]
	v_lshlrev_b32_e32 v0, 2, v3
	v_lshlrev_b64 v[24:25], 4, v[0:1]
	v_add_nc_u32_e32 v0, 0x800, v2
	v_add_co_u32 v40, s0, s12, v24
	v_add_co_ci_u32_e64 v41, s0, s13, v25, s0
	s_clause 0x4
	global_load_dwordx4 v[24:27], v[57:58], off offset:688
	global_load_dwordx4 v[28:31], v[40:41], off offset:640
	;; [unrolled: 1-line block ×5, first 2 shown]
	ds_read_b128 v[44:47], v21 offset:800
	ds_read_b128 v[48:51], v21 offset:1600
	;; [unrolled: 1-line block ×4, first 2 shown]
	ds_read_b128 v[60:63], v23
	ds_read_b128 v[64:67], v21 offset:1200
	ds_read_b128 v[68:71], v21 offset:2000
	;; [unrolled: 1-line block ×5, first 2 shown]
	s_waitcnt vmcnt(0) lgkmcnt(0)
	s_barrier
	buffer_gl0_inv
	v_mul_f64 v[84:85], v[46:47], v[6:7]
	v_mul_f64 v[6:7], v[44:45], v[6:7]
	;; [unrolled: 1-line block ×7, first 2 shown]
	v_fma_f64 v[44:45], v[44:45], v[4:5], v[84:85]
	v_fma_f64 v[3:4], v[46:47], v[4:5], -v[6:7]
	v_mul_f64 v[5:6], v[56:57], v[26:27]
	v_mul_f64 v[26:27], v[66:67], v[30:31]
	;; [unrolled: 1-line block ×4, first 2 shown]
	v_fma_f64 v[48:49], v[48:49], v[8:9], v[86:87]
	v_fma_f64 v[7:8], v[50:51], v[8:9], -v[10:11]
	v_mul_f64 v[9:10], v[68:69], v[34:35]
	v_mul_f64 v[34:35], v[74:75], v[38:39]
	;; [unrolled: 1-line block ×4, first 2 shown]
	v_fma_f64 v[52:53], v[52:53], v[12:13], v[88:89]
	v_fma_f64 v[11:12], v[54:55], v[12:13], -v[14:15]
	v_mul_f64 v[13:14], v[76:77], v[42:43]
	v_fma_f64 v[42:43], v[56:57], v[24:25], v[90:91]
	v_add_f64 v[54:55], v[62:63], v[3:4]
	v_fma_f64 v[5:6], v[58:59], v[24:25], -v[5:6]
	v_fma_f64 v[23:24], v[64:65], v[28:29], v[26:27]
	v_fma_f64 v[25:26], v[66:67], v[28:29], -v[30:31]
	v_fma_f64 v[27:28], v[68:69], v[32:33], v[46:47]
	v_add_f64 v[68:69], v[44:45], -v[48:49]
	v_add_f64 v[84:85], v[3:4], -v[7:8]
	v_fma_f64 v[9:10], v[70:71], v[32:33], -v[9:10]
	v_fma_f64 v[29:30], v[72:73], v[36:37], v[34:35]
	v_fma_f64 v[31:32], v[76:77], v[40:41], v[50:51]
	v_fma_f64 v[33:34], v[74:75], v[36:37], -v[38:39]
	v_add_f64 v[35:36], v[60:61], v[44:45]
	v_add_f64 v[37:38], v[48:49], v[52:53]
	v_fma_f64 v[13:14], v[78:79], v[40:41], -v[13:14]
	v_add_f64 v[39:40], v[7:8], v[11:12]
	v_add_f64 v[46:47], v[44:45], v[42:43]
	v_add_f64 v[70:71], v[42:43], -v[52:53]
	v_add_f64 v[76:77], v[48:49], -v[44:45]
	;; [unrolled: 1-line block ×5, first 2 shown]
	v_add_f64 v[54:55], v[54:55], v[7:8]
	v_add_f64 v[50:51], v[3:4], v[5:6]
	v_add_f64 v[88:89], v[5:6], -v[11:12]
	v_add_f64 v[72:73], v[80:81], v[23:24]
	v_add_f64 v[74:75], v[82:83], v[25:26]
	v_add_f64 v[3:4], v[3:4], -v[5:6]
	v_add_f64 v[7:8], v[7:8], -v[11:12]
	;; [unrolled: 1-line block ×3, first 2 shown]
	v_add_f64 v[56:57], v[27:28], v[29:30]
	v_add_f64 v[58:59], v[23:24], v[31:32]
	v_add_f64 v[64:65], v[9:10], v[33:34]
	v_add_f64 v[35:36], v[35:36], v[48:49]
	v_fma_f64 v[37:38], v[37:38], -0.5, v[60:61]
	v_add_f64 v[66:67], v[25:26], v[13:14]
	v_fma_f64 v[39:40], v[39:40], -0.5, v[62:63]
	v_fma_f64 v[46:47], v[46:47], -0.5, v[60:61]
	v_add_f64 v[48:49], v[48:49], -v[52:53]
	v_add_f64 v[92:93], v[23:24], -v[27:28]
	;; [unrolled: 1-line block ×4, first 2 shown]
	v_add_f64 v[68:69], v[68:69], v[70:71]
	v_add_f64 v[70:71], v[33:34], -v[13:14]
	v_add_f64 v[23:24], v[23:24], -v[31:32]
	v_fma_f64 v[50:51], v[50:51], -0.5, v[62:63]
	v_add_f64 v[62:63], v[25:26], -v[9:10]
	v_add_f64 v[60:61], v[29:30], -v[31:32]
	v_add_f64 v[84:85], v[84:85], v[88:89]
	v_add_f64 v[88:89], v[9:10], -v[33:34]
	v_add_f64 v[76:77], v[76:77], v[78:79]
	v_add_f64 v[78:79], v[27:28], -v[29:30]
	v_fma_f64 v[56:57], v[56:57], -0.5, v[80:81]
	v_fma_f64 v[58:59], v[58:59], -0.5, v[80:81]
	v_add_f64 v[80:81], v[13:14], -v[33:34]
	v_fma_f64 v[64:65], v[64:65], -0.5, v[82:83]
	v_add_f64 v[27:28], v[72:73], v[27:28]
	v_fma_f64 v[66:67], v[66:67], -0.5, v[82:83]
	v_add_f64 v[82:83], v[9:10], -v[25:26]
	v_add_f64 v[25:26], v[25:26], -v[13:14]
	v_add_f64 v[9:10], v[74:75], v[9:10]
	v_add_f64 v[35:36], v[35:36], v[52:53]
	v_fma_f64 v[52:53], v[3:4], s[4:5], v[37:38]
	v_fma_f64 v[72:73], v[44:45], s[6:7], v[39:40]
	;; [unrolled: 1-line block ×6, first 2 shown]
	v_add_f64 v[86:87], v[86:87], v[90:91]
	v_add_f64 v[90:91], v[92:93], v[94:95]
	;; [unrolled: 1-line block ×4, first 2 shown]
	v_fma_f64 v[92:93], v[88:89], s[6:7], v[58:59]
	v_add_f64 v[62:63], v[62:63], v[80:81]
	v_fma_f64 v[80:81], v[48:49], s[4:5], v[50:51]
	v_fma_f64 v[50:51], v[48:49], s[6:7], v[50:51]
	;; [unrolled: 1-line block ×3, first 2 shown]
	v_add_f64 v[70:71], v[82:83], v[70:71]
	v_fma_f64 v[82:83], v[25:26], s[4:5], v[56:57]
	v_fma_f64 v[56:57], v[25:26], s[6:7], v[56:57]
	;; [unrolled: 1-line block ×6, first 2 shown]
	v_add_f64 v[9:10], v[9:10], v[33:34]
	v_add_f64 v[27:28], v[27:28], v[29:30]
	v_fma_f64 v[29:30], v[7:8], s[8:9], v[52:53]
	v_fma_f64 v[33:34], v[48:49], s[14:15], v[72:73]
	;; [unrolled: 1-line block ×6, first 2 shown]
	v_add_f64 v[3:4], v[35:36], v[42:43]
	v_add_f64 v[5:6], v[11:12], v[5:6]
	v_fma_f64 v[52:53], v[44:45], s[14:15], v[80:81]
	v_fma_f64 v[44:45], v[44:45], s[8:9], v[50:51]
	;; [unrolled: 1-line block ×10, first 2 shown]
	v_add_f64 v[9:10], v[9:10], v[13:14]
	v_fma_f64 v[11:12], v[68:69], s[16:17], v[29:30]
	v_fma_f64 v[13:14], v[84:85], s[16:17], v[33:34]
	v_add_f64 v[7:8], v[27:28], v[31:32]
	v_fma_f64 v[27:28], v[76:77], s[16:17], v[48:49]
	v_fma_f64 v[31:32], v[76:77], s[16:17], v[46:47]
	;; [unrolled: 1-line block ×14, first 2 shown]
	ds_write_b128 v21, v[3:6]
	ds_write_b128 v21, v[11:14] offset:800
	ds_write_b128 v21, v[27:30] offset:1600
	;; [unrolled: 1-line block ×5, first 2 shown]
	ds_write2_b64 v2, v[35:36], v[43:44] offset0:150 offset1:151
	ds_write2_b64 v2, v[39:40], v[45:46] offset0:250 offset1:251
	;; [unrolled: 1-line block ×4, first 2 shown]
	s_waitcnt lgkmcnt(0)
	s_barrier
	buffer_gl0_inv
	s_and_saveexec_b32 s0, vcc_lo
	s_cbranch_execz .LBB0_20
; %bb.19:
	v_mul_lo_u32 v0, s3, v18
	v_mul_lo_u32 v4, s2, v19
	v_mad_u64_u32 v[2:3], null, s2, v18, 0
	v_lshl_add_u32 v23, v20, 4, v22
	v_mov_b32_e32 v21, v1
	v_lshlrev_b64 v[10:11], 4, v[16:17]
	v_lshlrev_b64 v[14:15], 4, v[20:21]
	v_add3_u32 v3, v3, v4, v0
	v_add_nc_u32_e32 v0, 25, v20
	v_lshlrev_b64 v[12:13], 4, v[2:3]
	ds_read_b128 v[2:5], v23
	ds_read_b128 v[6:9], v23 offset:400
	v_add_co_u32 v16, vcc_lo, s10, v12
	v_add_co_ci_u32_e32 v17, vcc_lo, s11, v13, vcc_lo
	v_lshlrev_b64 v[12:13], 4, v[0:1]
	v_add_co_u32 v31, vcc_lo, v16, v10
	v_add_co_ci_u32_e32 v32, vcc_lo, v17, v11, vcc_lo
	v_add_nc_u32_e32 v0, 50, v20
	v_add_co_u32 v10, vcc_lo, v31, v14
	v_add_co_ci_u32_e32 v11, vcc_lo, v32, v15, vcc_lo
	v_add_co_u32 v12, vcc_lo, v31, v12
	v_add_co_ci_u32_e32 v13, vcc_lo, v32, v13, vcc_lo
	s_waitcnt lgkmcnt(1)
	global_store_dwordx4 v[10:11], v[2:5], off
	s_waitcnt lgkmcnt(0)
	global_store_dwordx4 v[12:13], v[6:9], off
	v_lshlrev_b64 v[14:15], 4, v[0:1]
	v_add_nc_u32_e32 v0, 0x4b, v20
	ds_read_b128 v[2:5], v23 offset:800
	ds_read_b128 v[6:9], v23 offset:1200
	;; [unrolled: 1-line block ×3, first 2 shown]
	v_lshlrev_b64 v[16:17], 4, v[0:1]
	v_add_nc_u32_e32 v0, 0x64, v20
	v_add_co_u32 v14, vcc_lo, v31, v14
	v_add_co_ci_u32_e32 v15, vcc_lo, v32, v15, vcc_lo
	v_lshlrev_b64 v[18:19], 4, v[0:1]
	v_add_nc_u32_e32 v0, 0x7d, v20
	v_add_co_u32 v16, vcc_lo, v31, v16
	v_add_co_ci_u32_e32 v17, vcc_lo, v32, v17, vcc_lo
	;; [unrolled: 4-line block ×3, first 2 shown]
	s_waitcnt lgkmcnt(2)
	global_store_dwordx4 v[14:15], v[2:5], off
	s_waitcnt lgkmcnt(1)
	global_store_dwordx4 v[16:17], v[6:9], off
	v_lshlrev_b64 v[6:7], 4, v[0:1]
	v_add_nc_u32_e32 v0, 0xaf, v20
	s_waitcnt lgkmcnt(0)
	global_store_dwordx4 v[18:19], v[10:13], off
	v_add_co_u32 v18, vcc_lo, v31, v21
	v_add_co_ci_u32_e32 v19, vcc_lo, v32, v22, vcc_lo
	v_add_co_u32 v25, vcc_lo, v31, v6
	ds_read_b128 v[2:5], v23 offset:2000
	v_add_co_ci_u32_e32 v26, vcc_lo, v32, v7, vcc_lo
	ds_read_b128 v[6:9], v23 offset:2400
	ds_read_b128 v[10:13], v23 offset:2800
	ds_read_b128 v[14:17], v23 offset:3200
	ds_read_b128 v[21:24], v23 offset:3600
	v_lshlrev_b64 v[27:28], 4, v[0:1]
	v_add_nc_u32_e32 v0, 0xc8, v20
	v_lshlrev_b64 v[29:30], 4, v[0:1]
	v_add_nc_u32_e32 v0, 0xe1, v20
	v_add_co_u32 v27, vcc_lo, v31, v27
	v_add_co_ci_u32_e32 v28, vcc_lo, v32, v28, vcc_lo
	v_lshlrev_b64 v[0:1], 4, v[0:1]
	v_add_co_u32 v29, vcc_lo, v31, v29
	v_add_co_ci_u32_e32 v30, vcc_lo, v32, v30, vcc_lo
	v_add_co_u32 v0, vcc_lo, v31, v0
	v_add_co_ci_u32_e32 v1, vcc_lo, v32, v1, vcc_lo
	s_waitcnt lgkmcnt(4)
	global_store_dwordx4 v[18:19], v[2:5], off
	s_waitcnt lgkmcnt(3)
	global_store_dwordx4 v[25:26], v[6:9], off
	;; [unrolled: 2-line block ×5, first 2 shown]
.LBB0_20:
	s_endpgm
	.section	.rodata,"a",@progbits
	.p2align	6, 0x0
	.amdhsa_kernel fft_rtc_back_len250_factors_10_5_5_wgs_125_tpt_25_halfLds_dp_op_CI_CI_unitstride_sbrr_C2R_dirReg
		.amdhsa_group_segment_fixed_size 0
		.amdhsa_private_segment_fixed_size 0
		.amdhsa_kernarg_size 104
		.amdhsa_user_sgpr_count 6
		.amdhsa_user_sgpr_private_segment_buffer 1
		.amdhsa_user_sgpr_dispatch_ptr 0
		.amdhsa_user_sgpr_queue_ptr 0
		.amdhsa_user_sgpr_kernarg_segment_ptr 1
		.amdhsa_user_sgpr_dispatch_id 0
		.amdhsa_user_sgpr_flat_scratch_init 0
		.amdhsa_user_sgpr_private_segment_size 0
		.amdhsa_wavefront_size32 1
		.amdhsa_uses_dynamic_stack 0
		.amdhsa_system_sgpr_private_segment_wavefront_offset 0
		.amdhsa_system_sgpr_workgroup_id_x 1
		.amdhsa_system_sgpr_workgroup_id_y 0
		.amdhsa_system_sgpr_workgroup_id_z 0
		.amdhsa_system_sgpr_workgroup_info 0
		.amdhsa_system_vgpr_workitem_id 0
		.amdhsa_next_free_vgpr 100
		.amdhsa_next_free_sgpr 27
		.amdhsa_reserve_vcc 1
		.amdhsa_reserve_flat_scratch 0
		.amdhsa_float_round_mode_32 0
		.amdhsa_float_round_mode_16_64 0
		.amdhsa_float_denorm_mode_32 3
		.amdhsa_float_denorm_mode_16_64 3
		.amdhsa_dx10_clamp 1
		.amdhsa_ieee_mode 1
		.amdhsa_fp16_overflow 0
		.amdhsa_workgroup_processor_mode 1
		.amdhsa_memory_ordered 1
		.amdhsa_forward_progress 0
		.amdhsa_shared_vgpr_count 0
		.amdhsa_exception_fp_ieee_invalid_op 0
		.amdhsa_exception_fp_denorm_src 0
		.amdhsa_exception_fp_ieee_div_zero 0
		.amdhsa_exception_fp_ieee_overflow 0
		.amdhsa_exception_fp_ieee_underflow 0
		.amdhsa_exception_fp_ieee_inexact 0
		.amdhsa_exception_int_div_zero 0
	.end_amdhsa_kernel
	.text
.Lfunc_end0:
	.size	fft_rtc_back_len250_factors_10_5_5_wgs_125_tpt_25_halfLds_dp_op_CI_CI_unitstride_sbrr_C2R_dirReg, .Lfunc_end0-fft_rtc_back_len250_factors_10_5_5_wgs_125_tpt_25_halfLds_dp_op_CI_CI_unitstride_sbrr_C2R_dirReg
                                        ; -- End function
	.section	.AMDGPU.csdata,"",@progbits
; Kernel info:
; codeLenInByte = 7844
; NumSgprs: 29
; NumVgprs: 100
; ScratchSize: 0
; MemoryBound: 0
; FloatMode: 240
; IeeeMode: 1
; LDSByteSize: 0 bytes/workgroup (compile time only)
; SGPRBlocks: 3
; VGPRBlocks: 12
; NumSGPRsForWavesPerEU: 29
; NumVGPRsForWavesPerEU: 100
; Occupancy: 9
; WaveLimiterHint : 1
; COMPUTE_PGM_RSRC2:SCRATCH_EN: 0
; COMPUTE_PGM_RSRC2:USER_SGPR: 6
; COMPUTE_PGM_RSRC2:TRAP_HANDLER: 0
; COMPUTE_PGM_RSRC2:TGID_X_EN: 1
; COMPUTE_PGM_RSRC2:TGID_Y_EN: 0
; COMPUTE_PGM_RSRC2:TGID_Z_EN: 0
; COMPUTE_PGM_RSRC2:TIDIG_COMP_CNT: 0
	.text
	.p2alignl 6, 3214868480
	.fill 48, 4, 3214868480
	.type	__hip_cuid_38ceb5789365e0b0,@object ; @__hip_cuid_38ceb5789365e0b0
	.section	.bss,"aw",@nobits
	.globl	__hip_cuid_38ceb5789365e0b0
__hip_cuid_38ceb5789365e0b0:
	.byte	0                               ; 0x0
	.size	__hip_cuid_38ceb5789365e0b0, 1

	.ident	"AMD clang version 19.0.0git (https://github.com/RadeonOpenCompute/llvm-project roc-6.4.0 25133 c7fe45cf4b819c5991fe208aaa96edf142730f1d)"
	.section	".note.GNU-stack","",@progbits
	.addrsig
	.addrsig_sym __hip_cuid_38ceb5789365e0b0
	.amdgpu_metadata
---
amdhsa.kernels:
  - .args:
      - .actual_access:  read_only
        .address_space:  global
        .offset:         0
        .size:           8
        .value_kind:     global_buffer
      - .offset:         8
        .size:           8
        .value_kind:     by_value
      - .actual_access:  read_only
        .address_space:  global
        .offset:         16
        .size:           8
        .value_kind:     global_buffer
      - .actual_access:  read_only
        .address_space:  global
        .offset:         24
        .size:           8
        .value_kind:     global_buffer
      - .actual_access:  read_only
        .address_space:  global
        .offset:         32
        .size:           8
        .value_kind:     global_buffer
      - .offset:         40
        .size:           8
        .value_kind:     by_value
      - .actual_access:  read_only
        .address_space:  global
        .offset:         48
        .size:           8
        .value_kind:     global_buffer
      - .actual_access:  read_only
        .address_space:  global
        .offset:         56
        .size:           8
        .value_kind:     global_buffer
      - .offset:         64
        .size:           4
        .value_kind:     by_value
      - .actual_access:  read_only
        .address_space:  global
        .offset:         72
        .size:           8
        .value_kind:     global_buffer
      - .actual_access:  read_only
        .address_space:  global
        .offset:         80
        .size:           8
        .value_kind:     global_buffer
      - .actual_access:  read_only
        .address_space:  global
        .offset:         88
        .size:           8
        .value_kind:     global_buffer
      - .actual_access:  write_only
        .address_space:  global
        .offset:         96
        .size:           8
        .value_kind:     global_buffer
    .group_segment_fixed_size: 0
    .kernarg_segment_align: 8
    .kernarg_segment_size: 104
    .language:       OpenCL C
    .language_version:
      - 2
      - 0
    .max_flat_workgroup_size: 125
    .name:           fft_rtc_back_len250_factors_10_5_5_wgs_125_tpt_25_halfLds_dp_op_CI_CI_unitstride_sbrr_C2R_dirReg
    .private_segment_fixed_size: 0
    .sgpr_count:     29
    .sgpr_spill_count: 0
    .symbol:         fft_rtc_back_len250_factors_10_5_5_wgs_125_tpt_25_halfLds_dp_op_CI_CI_unitstride_sbrr_C2R_dirReg.kd
    .uniform_work_group_size: 1
    .uses_dynamic_stack: false
    .vgpr_count:     100
    .vgpr_spill_count: 0
    .wavefront_size: 32
    .workgroup_processor_mode: 1
amdhsa.target:   amdgcn-amd-amdhsa--gfx1030
amdhsa.version:
  - 1
  - 2
...

	.end_amdgpu_metadata
